;; amdgpu-corpus repo=ROCm/rocFFT kind=compiled arch=gfx906 opt=O3
	.text
	.amdgcn_target "amdgcn-amd-amdhsa--gfx906"
	.amdhsa_code_object_version 6
	.protected	fft_rtc_fwd_len224_factors_8_7_4_wgs_504_tpt_56_sp_ip_CI_sbcc_twdbase8_2step_dirReg ; -- Begin function fft_rtc_fwd_len224_factors_8_7_4_wgs_504_tpt_56_sp_ip_CI_sbcc_twdbase8_2step_dirReg
	.globl	fft_rtc_fwd_len224_factors_8_7_4_wgs_504_tpt_56_sp_ip_CI_sbcc_twdbase8_2step_dirReg
	.p2align	8
	.type	fft_rtc_fwd_len224_factors_8_7_4_wgs_504_tpt_56_sp_ip_CI_sbcc_twdbase8_2step_dirReg,@function
fft_rtc_fwd_len224_factors_8_7_4_wgs_504_tpt_56_sp_ip_CI_sbcc_twdbase8_2step_dirReg: ; @fft_rtc_fwd_len224_factors_8_7_4_wgs_504_tpt_56_sp_ip_CI_sbcc_twdbase8_2step_dirReg
; %bb.0:
	s_load_dwordx4 s[0:3], s[4:5], 0x18
	s_mov_b32 s7, 0
	s_mov_b64 s[24:25], 0
	s_waitcnt lgkmcnt(0)
	s_load_dwordx2 s[20:21], s[0:1], 0x8
	s_waitcnt lgkmcnt(0)
	s_add_u32 s8, s20, -1
	s_addc_u32 s9, s21, -1
	s_add_u32 s10, 0, 0x71c4fc00
	s_addc_u32 s11, 0, 0x7c
	s_mul_hi_u32 s13, s10, -9
	s_add_i32 s11, s11, 0x1c71c6a0
	s_sub_i32 s13, s13, s10
	s_mul_i32 s16, s11, -9
	s_mul_i32 s12, s10, -9
	s_add_i32 s13, s13, s16
	s_mul_hi_u32 s14, s11, s12
	s_mul_i32 s15, s11, s12
	s_mul_i32 s17, s10, s13
	s_mul_hi_u32 s12, s10, s12
	s_mul_hi_u32 s16, s10, s13
	s_add_u32 s12, s12, s17
	s_addc_u32 s16, 0, s16
	s_add_u32 s12, s12, s15
	s_mul_hi_u32 s17, s11, s13
	s_addc_u32 s12, s16, s14
	s_addc_u32 s14, s17, 0
	s_mul_i32 s13, s11, s13
	s_add_u32 s12, s12, s13
	v_mov_b32_e32 v1, s12
	s_addc_u32 s13, 0, s14
	v_add_co_u32_e32 v1, vcc, s10, v1
	s_cmp_lg_u64 vcc, 0
	s_addc_u32 s10, s11, s13
	v_readfirstlane_b32 s13, v1
	s_mul_i32 s12, s8, s10
	s_mul_hi_u32 s14, s8, s13
	s_mul_hi_u32 s11, s8, s10
	s_add_u32 s12, s14, s12
	s_addc_u32 s11, 0, s11
	s_mul_hi_u32 s15, s9, s13
	s_mul_i32 s13, s9, s13
	s_add_u32 s12, s12, s13
	s_mul_hi_u32 s14, s9, s10
	s_addc_u32 s11, s11, s15
	s_addc_u32 s12, s14, 0
	s_mul_i32 s10, s9, s10
	s_add_u32 s10, s11, s10
	s_addc_u32 s11, 0, s12
	s_add_u32 s12, s10, 1
	s_addc_u32 s13, s11, 0
	s_add_u32 s14, s10, 2
	s_mul_i32 s16, s11, 9
	s_mul_hi_u32 s17, s10, 9
	s_addc_u32 s15, s11, 0
	s_add_i32 s17, s17, s16
	s_mul_i32 s16, s10, 9
	v_mov_b32_e32 v1, s16
	v_sub_co_u32_e32 v1, vcc, s8, v1
	s_cmp_lg_u64 vcc, 0
	s_subb_u32 s8, s9, s17
	v_subrev_co_u32_e32 v2, vcc, 9, v1
	s_cmp_lg_u64 vcc, 0
	s_subb_u32 s9, s8, 0
	v_readfirstlane_b32 s16, v2
	s_cmp_gt_u32 s16, 8
	s_cselect_b32 s16, -1, 0
	s_cmp_eq_u32 s9, 0
	s_cselect_b32 s9, s16, -1
	s_cmp_lg_u32 s9, 0
	s_cselect_b32 s9, s14, s12
	s_cselect_b32 s12, s15, s13
	v_readfirstlane_b32 s13, v1
	s_cmp_gt_u32 s13, 8
	s_cselect_b32 s13, -1, 0
	s_cmp_eq_u32 s8, 0
	s_cselect_b32 s8, s13, -1
	s_cmp_lg_u32 s8, 0
	s_cselect_b32 s9, s9, s10
	s_cselect_b32 s8, s12, s11
	s_add_u32 s22, s9, 1
	s_addc_u32 s23, s8, 0
	v_mov_b32_e32 v1, s22
	v_mov_b32_e32 v2, s23
	v_cmp_lt_u64_e32 vcc, s[6:7], v[1:2]
	s_cbranch_vccnz .LBB0_2
; %bb.1:
	v_cvt_f32_u32_e32 v1, s22
	s_sub_i32 s8, 0, s22
	s_mov_b32 s25, s7
	v_rcp_iflag_f32_e32 v1, v1
	v_mul_f32_e32 v1, 0x4f7ffffe, v1
	v_cvt_u32_f32_e32 v1, v1
	v_readfirstlane_b32 s9, v1
	s_mul_i32 s8, s8, s9
	s_mul_hi_u32 s8, s9, s8
	s_add_i32 s9, s9, s8
	s_mul_hi_u32 s8, s6, s9
	s_mul_i32 s10, s8, s22
	s_sub_i32 s10, s6, s10
	s_add_i32 s9, s8, 1
	s_sub_i32 s11, s10, s22
	s_cmp_ge_u32 s10, s22
	s_cselect_b32 s8, s9, s8
	s_cselect_b32 s10, s11, s10
	s_add_i32 s9, s8, 1
	s_cmp_ge_u32 s10, s22
	s_cselect_b32 s24, s9, s8
.LBB0_2:
	s_load_dwordx2 s[16:17], s[4:5], 0x58
	s_load_dwordx4 s[8:11], s[2:3], 0x0
	s_load_dwordx2 s[18:19], s[4:5], 0x0
	s_load_dwordx4 s[12:15], s[4:5], 0x8
	s_mul_i32 s4, s24, s23
	s_mul_hi_u32 s5, s24, s22
	s_add_i32 s5, s5, s4
	s_mul_i32 s4, s24, s22
	s_sub_u32 s38, s6, s4
	s_subb_u32 s4, 0, s5
	s_mul_i32 s4, s4, 9
	s_mul_hi_u32 s33, s38, 9
	s_add_i32 s33, s33, s4
	s_mul_i32 s38, s38, 9
	s_waitcnt lgkmcnt(0)
	s_mul_i32 s4, s10, s33
	s_mul_hi_u32 s5, s10, s38
	s_add_i32 s4, s5, s4
	s_mul_i32 s5, s11, s38
	s_add_i32 s39, s4, s5
	v_cmp_lt_u64_e64 s[4:5], s[14:15], 3
	s_mul_i32 s40, s10, s38
	s_and_b64 vcc, exec, s[4:5]
	s_cbranch_vccnz .LBB0_12
; %bb.3:
	s_add_u32 s4, s2, 16
	s_addc_u32 s5, s3, 0
	s_add_u32 s26, s0, 16
	v_mov_b32_e32 v1, s14
	s_addc_u32 s27, s1, 0
	s_mov_b64 s[28:29], 2
	s_mov_b32 s30, 0
	v_mov_b32_e32 v2, s15
.LBB0_4:                                ; =>This Inner Loop Header: Depth=1
	s_load_dwordx2 s[34:35], s[26:27], 0x0
	s_waitcnt lgkmcnt(0)
	s_or_b64 s[0:1], s[24:25], s[34:35]
	s_mov_b32 s31, s1
	s_cmp_lg_u64 s[30:31], 0
	s_cbranch_scc0 .LBB0_9
; %bb.5:                                ;   in Loop: Header=BB0_4 Depth=1
	v_cvt_f32_u32_e32 v3, s34
	v_cvt_f32_u32_e32 v4, s35
	s_sub_u32 s0, 0, s34
	s_subb_u32 s1, 0, s35
	v_mac_f32_e32 v3, 0x4f800000, v4
	v_rcp_f32_e32 v3, v3
	v_mul_f32_e32 v3, 0x5f7ffffc, v3
	v_mul_f32_e32 v4, 0x2f800000, v3
	v_trunc_f32_e32 v4, v4
	v_mac_f32_e32 v3, 0xcf800000, v4
	v_cvt_u32_f32_e32 v4, v4
	v_cvt_u32_f32_e32 v3, v3
	v_readfirstlane_b32 s31, v4
	v_readfirstlane_b32 s36, v3
	s_mul_i32 s37, s0, s31
	s_mul_hi_u32 s42, s0, s36
	s_mul_i32 s41, s1, s36
	s_add_i32 s37, s42, s37
	s_mul_i32 s43, s0, s36
	s_add_i32 s37, s37, s41
	s_mul_hi_u32 s41, s36, s37
	s_mul_i32 s42, s36, s37
	s_mul_hi_u32 s36, s36, s43
	s_add_u32 s36, s36, s42
	s_addc_u32 s41, 0, s41
	s_mul_hi_u32 s44, s31, s43
	s_mul_i32 s43, s31, s43
	s_add_u32 s36, s36, s43
	s_mul_hi_u32 s42, s31, s37
	s_addc_u32 s36, s41, s44
	s_addc_u32 s41, s42, 0
	s_mul_i32 s37, s31, s37
	s_add_u32 s36, s36, s37
	s_addc_u32 s37, 0, s41
	v_add_co_u32_e32 v3, vcc, s36, v3
	s_cmp_lg_u64 vcc, 0
	s_addc_u32 s31, s31, s37
	v_readfirstlane_b32 s37, v3
	s_mul_i32 s36, s0, s31
	s_mul_hi_u32 s41, s0, s37
	s_add_i32 s36, s41, s36
	s_mul_i32 s1, s1, s37
	s_add_i32 s36, s36, s1
	s_mul_i32 s0, s0, s37
	s_mul_hi_u32 s41, s31, s0
	s_mul_i32 s42, s31, s0
	s_mul_i32 s44, s37, s36
	s_mul_hi_u32 s0, s37, s0
	s_mul_hi_u32 s43, s37, s36
	s_add_u32 s0, s0, s44
	s_addc_u32 s37, 0, s43
	s_add_u32 s0, s0, s42
	s_mul_hi_u32 s1, s31, s36
	s_addc_u32 s0, s37, s41
	s_addc_u32 s1, s1, 0
	s_mul_i32 s36, s31, s36
	s_add_u32 s0, s0, s36
	s_addc_u32 s1, 0, s1
	v_add_co_u32_e32 v3, vcc, s0, v3
	s_cmp_lg_u64 vcc, 0
	s_addc_u32 s0, s31, s1
	v_readfirstlane_b32 s36, v3
	s_mul_i32 s31, s24, s0
	s_mul_hi_u32 s37, s24, s36
	s_mul_hi_u32 s1, s24, s0
	s_add_u32 s31, s37, s31
	s_addc_u32 s1, 0, s1
	s_mul_hi_u32 s41, s25, s36
	s_mul_i32 s36, s25, s36
	s_add_u32 s31, s31, s36
	s_mul_hi_u32 s37, s25, s0
	s_addc_u32 s1, s1, s41
	s_addc_u32 s31, s37, 0
	s_mul_i32 s0, s25, s0
	s_add_u32 s36, s1, s0
	s_addc_u32 s31, 0, s31
	s_mul_i32 s0, s34, s31
	s_mul_hi_u32 s1, s34, s36
	s_add_i32 s0, s1, s0
	s_mul_i32 s1, s35, s36
	s_add_i32 s37, s0, s1
	s_mul_i32 s1, s34, s36
	v_mov_b32_e32 v3, s1
	s_sub_i32 s0, s25, s37
	v_sub_co_u32_e32 v3, vcc, s24, v3
	s_cmp_lg_u64 vcc, 0
	s_subb_u32 s41, s0, s35
	v_subrev_co_u32_e64 v4, s[0:1], s34, v3
	s_cmp_lg_u64 s[0:1], 0
	s_subb_u32 s0, s41, 0
	s_cmp_ge_u32 s0, s35
	v_readfirstlane_b32 s41, v4
	s_cselect_b32 s1, -1, 0
	s_cmp_ge_u32 s41, s34
	s_cselect_b32 s41, -1, 0
	s_cmp_eq_u32 s0, s35
	s_cselect_b32 s0, s41, s1
	s_add_u32 s1, s36, 1
	s_addc_u32 s41, s31, 0
	s_add_u32 s42, s36, 2
	s_addc_u32 s43, s31, 0
	s_cmp_lg_u32 s0, 0
	s_cselect_b32 s0, s42, s1
	s_cselect_b32 s1, s43, s41
	s_cmp_lg_u64 vcc, 0
	s_subb_u32 s37, s25, s37
	s_cmp_ge_u32 s37, s35
	v_readfirstlane_b32 s42, v3
	s_cselect_b32 s41, -1, 0
	s_cmp_ge_u32 s42, s34
	s_cselect_b32 s42, -1, 0
	s_cmp_eq_u32 s37, s35
	s_cselect_b32 s37, s42, s41
	s_cmp_lg_u32 s37, 0
	s_cselect_b32 s1, s1, s31
	s_cselect_b32 s0, s0, s36
	s_cbranch_execnz .LBB0_7
.LBB0_6:                                ;   in Loop: Header=BB0_4 Depth=1
	v_cvt_f32_u32_e32 v3, s34
	s_sub_i32 s0, 0, s34
	v_rcp_iflag_f32_e32 v3, v3
	v_mul_f32_e32 v3, 0x4f7ffffe, v3
	v_cvt_u32_f32_e32 v3, v3
	v_readfirstlane_b32 s1, v3
	s_mul_i32 s0, s0, s1
	s_mul_hi_u32 s0, s1, s0
	s_add_i32 s1, s1, s0
	s_mul_hi_u32 s0, s24, s1
	s_mul_i32 s31, s0, s34
	s_sub_i32 s31, s24, s31
	s_add_i32 s1, s0, 1
	s_sub_i32 s36, s31, s34
	s_cmp_ge_u32 s31, s34
	s_cselect_b32 s0, s1, s0
	s_cselect_b32 s31, s36, s31
	s_add_i32 s1, s0, 1
	s_cmp_ge_u32 s31, s34
	s_cselect_b32 s0, s1, s0
	s_mov_b32 s1, s30
.LBB0_7:                                ;   in Loop: Header=BB0_4 Depth=1
	s_mul_i32 s23, s34, s23
	s_mul_hi_u32 s31, s34, s22
	s_add_i32 s23, s31, s23
	s_mul_i32 s31, s35, s22
	s_add_i32 s23, s23, s31
	s_mul_i32 s31, s0, s35
	s_mul_hi_u32 s35, s0, s34
	s_load_dwordx2 s[36:37], s[4:5], 0x0
	s_add_i32 s31, s35, s31
	s_mul_i32 s35, s1, s34
	s_mul_i32 s22, s34, s22
	s_add_i32 s31, s31, s35
	s_mul_i32 s34, s0, s34
	s_sub_u32 s24, s24, s34
	s_subb_u32 s25, s25, s31
	s_waitcnt lgkmcnt(0)
	s_mul_i32 s25, s36, s25
	s_mul_hi_u32 s31, s36, s24
	s_add_i32 s25, s31, s25
	s_mul_i32 s31, s37, s24
	s_add_i32 s25, s25, s31
	s_mul_i32 s24, s36, s24
	s_add_u32 s40, s24, s40
	s_addc_u32 s39, s25, s39
	s_add_u32 s28, s28, 1
	s_addc_u32 s29, s29, 0
	;; [unrolled: 2-line block ×3, first 2 shown]
	v_cmp_ge_u64_e32 vcc, s[28:29], v[1:2]
	s_add_u32 s26, s26, 8
	s_addc_u32 s27, s27, 0
	s_cbranch_vccnz .LBB0_10
; %bb.8:                                ;   in Loop: Header=BB0_4 Depth=1
	s_mov_b64 s[24:25], s[0:1]
	s_branch .LBB0_4
.LBB0_9:                                ;   in Loop: Header=BB0_4 Depth=1
                                        ; implicit-def: $sgpr0_sgpr1
	s_branch .LBB0_6
.LBB0_10:
	v_mov_b32_e32 v1, s22
	v_mov_b32_e32 v2, s23
	v_cmp_lt_u64_e32 vcc, s[6:7], v[1:2]
	s_mov_b64 s[24:25], 0
	s_cbranch_vccnz .LBB0_12
; %bb.11:
	v_cvt_f32_u32_e32 v1, s22
	s_sub_i32 s0, 0, s22
	v_rcp_iflag_f32_e32 v1, v1
	v_mul_f32_e32 v1, 0x4f7ffffe, v1
	v_cvt_u32_f32_e32 v1, v1
	v_readfirstlane_b32 s1, v1
	s_mul_i32 s0, s0, s1
	s_mul_hi_u32 s0, s1, s0
	s_add_i32 s1, s1, s0
	s_mul_hi_u32 s0, s6, s1
	s_mul_i32 s4, s0, s22
	s_sub_i32 s4, s6, s4
	s_add_i32 s1, s0, 1
	s_sub_i32 s5, s4, s22
	s_cmp_ge_u32 s4, s22
	s_cselect_b32 s0, s1, s0
	s_cselect_b32 s4, s5, s4
	s_add_i32 s1, s0, 1
	s_cmp_ge_u32 s4, s22
	s_cselect_b32 s24, s1, s0
.LBB0_12:
	s_lshl_b64 s[0:1], s[14:15], 3
	s_add_u32 s0, s2, s0
	s_addc_u32 s1, s3, s1
	s_load_dwordx2 s[0:1], s[0:1], 0x0
	v_mul_u32_u24_e32 v1, 0x1c72, v0
	v_lshrrev_b32_e32 v20, 16, v1
	v_mul_lo_u16_e32 v1, 9, v20
	v_sub_u16_e32 v19, v0, v1
	s_waitcnt lgkmcnt(0)
	s_mul_i32 s1, s1, s24
	s_mul_hi_u32 s2, s0, s24
	s_mul_i32 s0, s0, s24
	s_add_i32 s2, s2, s1
	s_add_u32 s6, s0, s40
	s_addc_u32 s7, s2, s39
	s_add_u32 s0, s38, 9
	v_mov_b32_e32 v1, s20
	s_addc_u32 s1, s33, 0
	v_mov_b32_e32 v2, s21
	v_cmp_le_u64_e32 vcc, s[0:1], v[1:2]
	s_movk_i32 s0, 0xfc
	v_cmp_gt_u32_e64 s[2:3], s0, v0
	s_and_b64 s[0:1], s[2:3], vcc
	v_add_u32_e32 v22, 28, v20
	v_add_u32_e32 v21, 56, v20
                                        ; implicit-def: $vgpr6
                                        ; implicit-def: $vgpr4
                                        ; implicit-def: $vgpr10
                                        ; implicit-def: $vgpr8
                                        ; implicit-def: $vgpr14
                                        ; implicit-def: $vgpr12
                                        ; implicit-def: $vgpr16
                                        ; implicit-def: $vgpr18
	s_and_saveexec_b64 s[4:5], s[0:1]
	s_cbranch_execz .LBB0_14
; %bb.13:
	v_mad_u64_u32 v[1:2], s[0:1], s10, v19, 0
	v_mad_u64_u32 v[3:4], s[0:1], s8, v20, 0
	;; [unrolled: 1-line block ×3, first 2 shown]
	v_mov_b32_e32 v2, v4
	v_mad_u64_u32 v[6:7], s[0:1], s9, v20, v[2:3]
	s_lshl_b64 s[0:1], s[6:7], 3
	s_add_u32 s14, s16, s0
	s_addc_u32 s0, s17, s1
	v_mov_b32_e32 v2, v5
	v_mov_b32_e32 v4, v6
	;; [unrolled: 1-line block ×3, first 2 shown]
	v_mad_u64_u32 v[5:6], s[0:1], s8, v22, 0
	v_lshlrev_b64 v[1:2], 3, v[1:2]
	v_add_co_u32_e64 v11, s[0:1], s14, v1
	v_addc_co_u32_e64 v12, s[0:1], v7, v2, s[0:1]
	v_lshlrev_b64 v[1:2], 3, v[3:4]
	v_mov_b32_e32 v3, v6
	v_mad_u64_u32 v[3:4], s[0:1], s9, v22, v[3:4]
	v_mad_u64_u32 v[7:8], s[0:1], s8, v21, 0
	v_mov_b32_e32 v6, v3
	v_add_co_u32_e64 v1, s[0:1], v11, v1
	v_lshlrev_b64 v[3:4], 3, v[5:6]
	v_mov_b32_e32 v5, v8
	v_addc_co_u32_e64 v2, s[0:1], v12, v2, s[0:1]
	v_mad_u64_u32 v[5:6], s[0:1], s9, v21, v[5:6]
	v_add_u32_e32 v6, 0x54, v20
	v_mad_u64_u32 v[9:10], s[0:1], s8, v6, 0
	v_add_co_u32_e64 v23, s[0:1], v11, v3
	v_mov_b32_e32 v8, v5
	v_mov_b32_e32 v5, v10
	v_addc_co_u32_e64 v24, s[0:1], v12, v4, s[0:1]
	v_lshlrev_b64 v[3:4], 3, v[7:8]
	v_mad_u64_u32 v[5:6], s[0:1], s9, v6, v[5:6]
	v_add_u32_e32 v8, 0x70, v20
	v_mad_u64_u32 v[6:7], s[0:1], s8, v8, 0
	v_add_co_u32_e64 v25, s[0:1], v11, v3
	v_mov_b32_e32 v10, v5
	v_mov_b32_e32 v5, v7
	v_addc_co_u32_e64 v26, s[0:1], v12, v4, s[0:1]
	v_mad_u64_u32 v[7:8], s[0:1], s9, v8, v[5:6]
	v_lshlrev_b64 v[3:4], 3, v[9:10]
	v_add_u32_e32 v9, 0xa8, v20
	v_add_co_u32_e64 v27, s[0:1], v11, v3
	v_addc_co_u32_e64 v28, s[0:1], v12, v4, s[0:1]
	v_lshlrev_b64 v[3:4], 3, v[6:7]
	v_add_u32_e32 v7, 0x8c, v20
	v_mad_u64_u32 v[5:6], s[0:1], s8, v7, 0
	v_add_co_u32_e64 v29, s[0:1], v11, v3
	v_mov_b32_e32 v3, v6
	v_addc_co_u32_e64 v30, s[0:1], v12, v4, s[0:1]
	v_mad_u64_u32 v[3:4], s[0:1], s9, v7, v[3:4]
	v_mad_u64_u32 v[7:8], s[0:1], s8, v9, 0
	v_mov_b32_e32 v6, v3
	v_lshlrev_b64 v[3:4], 3, v[5:6]
	v_mov_b32_e32 v5, v8
	v_mad_u64_u32 v[5:6], s[0:1], s9, v9, v[5:6]
	v_add_co_u32_e64 v31, s[0:1], v11, v3
	v_mov_b32_e32 v8, v5
	v_addc_co_u32_e64 v32, s[0:1], v12, v4, s[0:1]
	v_lshlrev_b64 v[3:4], 3, v[7:8]
	v_add_u32_e32 v5, 0xc4, v20
	v_add_co_u32_e64 v33, s[0:1], v11, v3
	v_addc_co_u32_e64 v34, s[0:1], v12, v4, s[0:1]
	v_mad_u64_u32 v[3:4], s[0:1], s8, v5, 0
	v_mad_u64_u32 v[4:5], s[0:1], s9, v5, v[4:5]
	v_lshlrev_b64 v[3:4], 3, v[3:4]
	v_add_co_u32_e64 v35, s[0:1], v11, v3
	v_addc_co_u32_e64 v36, s[0:1], v12, v4, s[0:1]
	global_load_dwordx2 v[5:6], v[1:2], off
	global_load_dwordx2 v[3:4], v[23:24], off
	;; [unrolled: 1-line block ×8, first 2 shown]
.LBB0_14:
	s_or_b64 exec, exec, s[4:5]
	v_mov_b32_e32 v2, s33
	v_add_co_u32_e64 v1, s[0:1], s38, v19
	v_addc_co_u32_e64 v2, s[0:1], 0, v2, s[0:1]
	v_cmp_gt_u64_e64 s[0:1], s[20:21], v[1:2]
	s_xor_b64 s[4:5], vcc, -1
	s_and_b64 s[14:15], s[2:3], s[0:1]
	s_and_b64 s[4:5], s[4:5], s[14:15]
	s_and_saveexec_b64 s[14:15], s[4:5]
	s_cbranch_execz .LBB0_16
; %bb.15:
	s_waitcnt vmcnt(6)
	v_mad_u64_u32 v[2:3], s[4:5], s10, v19, 0
	v_mad_u64_u32 v[4:5], s[4:5], s8, v20, 0
	v_add_u32_e32 v31, 0xc4, v20
	s_waitcnt vmcnt(4)
	v_mad_u64_u32 v[6:7], s[4:5], s11, v19, v[3:4]
	v_mov_b32_e32 v3, v5
	v_mad_u64_u32 v[7:8], s[4:5], s9, v20, v[3:4]
	s_lshl_b64 s[4:5], s[6:7], 3
	s_add_u32 s20, s16, s4
	s_addc_u32 s4, s17, s5
	v_mov_b32_e32 v3, v6
	v_mov_b32_e32 v5, v7
	;; [unrolled: 1-line block ×3, first 2 shown]
	v_mad_u64_u32 v[6:7], s[4:5], s8, v22, 0
	v_lshlrev_b64 v[2:3], 3, v[2:3]
	v_add_co_u32_e64 v29, s[4:5], s20, v2
	v_addc_co_u32_e64 v30, s[4:5], v8, v3, s[4:5]
	v_lshlrev_b64 v[2:3], 3, v[4:5]
	v_mov_b32_e32 v4, v7
	v_mad_u64_u32 v[4:5], s[4:5], s9, v22, v[4:5]
	v_mad_u64_u32 v[8:9], s[4:5], s8, v21, 0
	s_waitcnt vmcnt(2)
	v_add_co_u32_e64 v11, s[4:5], v29, v2
	v_mov_b32_e32 v7, v4
	v_mov_b32_e32 v4, v9
	v_addc_co_u32_e64 v12, s[4:5], v30, v3, s[4:5]
	v_lshlrev_b64 v[2:3], 3, v[6:7]
	v_mad_u64_u32 v[4:5], s[4:5], s9, v21, v[4:5]
	v_add_u32_e32 v7, 0x54, v20
	v_mad_u64_u32 v[5:6], s[4:5], s8, v7, 0
	v_add_co_u32_e64 v13, s[4:5], v29, v2
	v_mov_b32_e32 v9, v4
	v_mov_b32_e32 v4, v6
	v_addc_co_u32_e64 v14, s[4:5], v30, v3, s[4:5]
	v_lshlrev_b64 v[2:3], 3, v[8:9]
	v_mad_u64_u32 v[6:7], s[4:5], s9, v7, v[4:5]
	v_add_u32_e32 v9, 0x70, v20
	v_mad_u64_u32 v[7:8], s[4:5], s8, v9, 0
	s_waitcnt vmcnt(1)
	v_add_co_u32_e64 v15, s[4:5], v29, v2
	v_mov_b32_e32 v4, v8
	v_addc_co_u32_e64 v16, s[4:5], v30, v3, s[4:5]
	v_lshlrev_b64 v[2:3], 3, v[5:6]
	v_mad_u64_u32 v[4:5], s[4:5], s9, v9, v[4:5]
	v_add_u32_e32 v9, 0x8c, v20
	v_mad_u64_u32 v[5:6], s[4:5], s8, v9, 0
	s_waitcnt vmcnt(0)
	v_add_co_u32_e64 v17, s[4:5], v29, v2
	v_mov_b32_e32 v8, v4
	v_addc_co_u32_e64 v18, s[4:5], v30, v3, s[4:5]
	v_lshlrev_b64 v[2:3], 3, v[7:8]
	v_mov_b32_e32 v4, v6
	v_mad_u64_u32 v[6:7], s[4:5], s9, v9, v[4:5]
	v_add_co_u32_e64 v21, s[4:5], v29, v2
	v_add_u32_e32 v4, 0xa8, v20
	v_addc_co_u32_e64 v22, s[4:5], v30, v3, s[4:5]
	v_mad_u64_u32 v[23:24], s[4:5], s8, v4, 0
	v_lshlrev_b64 v[2:3], 3, v[5:6]
	v_add_co_u32_e64 v25, s[4:5], v29, v2
	v_mov_b32_e32 v2, v24
	v_addc_co_u32_e64 v26, s[4:5], v30, v3, s[4:5]
	v_mad_u64_u32 v[2:3], s[4:5], s9, v4, v[2:3]
	global_load_dwordx2 v[5:6], v[11:12], off
	global_load_dwordx2 v[3:4], v[13:14], off
	;; [unrolled: 1-line block ×4, first 2 shown]
	v_mad_u64_u32 v[27:28], s[4:5], s8, v31, 0
	v_mov_b32_e32 v24, v2
	v_lshlrev_b64 v[11:12], 3, v[23:24]
	v_mov_b32_e32 v2, v28
	s_waitcnt vmcnt(2)
	v_mad_u64_u32 v[13:14], s[4:5], s9, v31, v[2:3]
	v_add_co_u32_e64 v23, s[4:5], v29, v11
	v_mov_b32_e32 v28, v13
	v_addc_co_u32_e64 v24, s[4:5], v30, v12, s[4:5]
	v_lshlrev_b64 v[11:12], 3, v[27:28]
	v_add_co_u32_e64 v27, s[4:5], v29, v11
	v_addc_co_u32_e64 v28, s[4:5], v30, v12, s[4:5]
	global_load_dwordx2 v[13:14], v[21:22], off
	global_load_dwordx2 v[11:12], v[25:26], off
	;; [unrolled: 1-line block ×4, first 2 shown]
.LBB0_16:
	s_or_b64 exec, exec, s[14:15]
	s_waitcnt vmcnt(3)
	v_sub_f32_e32 v2, v5, v13
	v_sub_f32_e32 v13, v6, v14
	s_waitcnt vmcnt(1)
	v_sub_f32_e32 v14, v9, v15
	v_sub_f32_e32 v15, v10, v16
	;; [unrolled: 1-line block ×4, first 2 shown]
	s_waitcnt vmcnt(0)
	v_sub_f32_e32 v16, v7, v17
	v_sub_f32_e32 v17, v8, v18
	v_add_f32_e32 v22, v13, v14
	v_fma_f32 v5, v5, 2.0, -v2
	v_fma_f32 v6, v6, 2.0, -v13
	;; [unrolled: 1-line block ×8, first 2 shown]
	v_sub_f32_e32 v15, v2, v15
	v_fma_f32 v13, v13, 2.0, -v22
	v_add_f32_e32 v25, v12, v16
	v_sub_f32_e32 v18, v5, v9
	v_fma_f32 v14, v2, 2.0, -v15
	v_sub_f32_e32 v7, v3, v7
	v_sub_f32_e32 v23, v4, v8
	;; [unrolled: 1-line block ×3, first 2 shown]
	v_fma_f32 v12, v12, 2.0, -v25
	v_mov_b32_e32 v9, v13
	v_sub_f32_e32 v21, v6, v10
	v_fma_f32 v5, v5, 2.0, -v18
	v_fma_f32 v2, v3, 2.0, -v7
	;; [unrolled: 1-line block ×4, first 2 shown]
	v_mov_b32_e32 v8, v14
	v_fmac_f32_e32 v9, 0xbf3504f3, v12
	v_mov_b32_e32 v16, v15
	v_mov_b32_e32 v17, v22
	v_fma_f32 v6, v6, 2.0, -v21
	v_sub_f32_e32 v10, v5, v2
	v_fmac_f32_e32 v8, 0xbf3504f3, v4
	v_fmac_f32_e32 v9, 0x3f3504f3, v4
	v_fmac_f32_e32 v16, 0x3f3504f3, v24
	v_fmac_f32_e32 v17, 0x3f3504f3, v25
	v_sub_f32_e32 v11, v6, v3
	v_fma_f32 v2, v5, 2.0, -v10
	v_fmac_f32_e32 v8, 0xbf3504f3, v12
	v_fma_f32 v5, v13, 2.0, -v9
	v_sub_f32_e32 v12, v18, v23
	v_add_f32_e32 v13, v21, v7
	v_fmac_f32_e32 v16, 0xbf3504f3, v25
	v_fmac_f32_e32 v17, 0x3f3504f3, v24
	v_fma_f32 v3, v6, 2.0, -v11
	v_fma_f32 v4, v14, 2.0, -v8
	;; [unrolled: 1-line block ×6, first 2 shown]
	v_lshlrev_b32_e32 v18, 3, v19
	s_and_saveexec_b64 s[4:5], s[2:3]
	s_cbranch_execz .LBB0_18
; %bb.17:
	v_mul_u32_u24_e32 v21, 0x240, v20
	v_add3_u32 v21, 0, v21, v18
	ds_write2_b64 v21, v[2:3], v[4:5] offset1:9
	ds_write2_b64 v21, v[6:7], v[14:15] offset0:18 offset1:27
	ds_write2_b64 v21, v[10:11], v[8:9] offset0:36 offset1:45
	;; [unrolled: 1-line block ×3, first 2 shown]
.LBB0_18:
	s_or_b64 exec, exec, s[4:5]
	s_movk_i32 s2, 0x120
	v_cmp_gt_u32_e64 s[2:3], s2, v0
	s_waitcnt lgkmcnt(0)
	s_barrier
	s_and_saveexec_b64 s[4:5], s[2:3]
	s_cbranch_execz .LBB0_20
; %bb.19:
	v_mul_u32_u24_e32 v2, 0x48, v20
	v_add3_u32 v12, 0, v2, v18
	ds_read_b64 v[2:3], v12
	ds_read_b64 v[4:5], v12 offset:2304
	ds_read_b64 v[6:7], v12 offset:4608
	ds_read_b64 v[14:15], v12 offset:6912
	ds_read_b64 v[10:11], v12 offset:9216
	ds_read_b64 v[8:9], v12 offset:11520
	ds_read_b64 v[12:13], v12 offset:13824
.LBB0_20:
	s_or_b64 exec, exec, s[4:5]
	s_waitcnt lgkmcnt(0)
	s_barrier
	s_and_saveexec_b64 s[4:5], s[2:3]
	s_cbranch_execz .LBB0_22
; %bb.21:
	v_and_b32_e32 v29, 7, v20
	v_mul_u32_u24_e32 v16, 6, v29
	v_lshlrev_b32_e32 v16, 3, v16
	global_load_dwordx4 v[21:24], v16, s[18:19] offset:16
	global_load_dwordx4 v[25:28], v16, s[18:19]
	s_mov_b32 s2, 0xbeae86e6
	s_mov_b32 s3, 0xbf3bfb3b
	;; [unrolled: 1-line block ×3, first 2 shown]
	s_waitcnt vmcnt(1)
	v_mul_f32_e32 v17, v15, v22
	v_fma_f32 v30, v14, v21, -v17
	v_mul_f32_e32 v22, v14, v22
	v_mul_f32_e32 v14, v11, v24
	v_fmac_f32_e32 v22, v15, v21
	v_fma_f32 v21, v10, v23, -v14
	global_load_dwordx4 v[14:17], v16, s[18:19] offset:32
	v_mul_f32_e32 v10, v10, v24
	v_fmac_f32_e32 v10, v11, v23
	s_waitcnt vmcnt(0)
	v_mul_f32_e32 v11, v13, v17
	v_fma_f32 v11, v12, v16, -v11
	v_mul_f32_e32 v12, v12, v17
	v_fmac_f32_e32 v12, v13, v16
	v_mul_f32_e32 v13, v9, v15
	v_fma_f32 v13, v8, v14, -v13
	v_mul_f32_e32 v8, v8, v15
	v_fmac_f32_e32 v8, v9, v14
	v_mul_f32_e32 v9, v5, v26
	v_mul_f32_e32 v14, v7, v28
	;; [unrolled: 1-line block ×3, first 2 shown]
	v_fma_f32 v4, v4, v25, -v9
	v_fmac_f32_e32 v15, v5, v25
	v_mul_f32_e32 v5, v6, v28
	v_fma_f32 v6, v6, v27, -v14
	v_fmac_f32_e32 v5, v7, v27
	v_sub_f32_e32 v7, v4, v11
	v_sub_f32_e32 v9, v21, v30
	;; [unrolled: 1-line block ×3, first 2 shown]
	v_add_f32_e32 v16, v15, v12
	v_add_f32_e32 v17, v22, v10
	;; [unrolled: 1-line block ×6, first 2 shown]
	v_sub_f32_e32 v12, v15, v12
	v_sub_f32_e32 v10, v10, v22
	;; [unrolled: 1-line block ×5, first 2 shown]
	v_add_f32_e32 v9, v9, v14
	v_sub_f32_e32 v15, v16, v17
	v_sub_f32_e32 v21, v17, v23
	v_add_f32_e32 v22, v23, v16
	v_sub_f32_e32 v24, v4, v11
	v_sub_f32_e32 v25, v11, v6
	v_sub_f32_e32 v16, v23, v16
	v_add_f32_e32 v23, v6, v4
	v_sub_f32_e32 v26, v6, v4
	;; [unrolled: 4-line block ×3, first 2 shown]
	v_add_f32_e32 v10, v10, v5
	v_mul_f32_e32 v13, 0xbf08b237, v13
	v_sub_f32_e32 v14, v5, v12
	v_mul_f32_e32 v5, 0x3f4a47b2, v15
	v_add_f32_e32 v15, v17, v22
	v_mul_f32_e32 v17, 0x3d64c772, v21
	v_add_f32_e32 v11, v11, v23
	;; [unrolled: 2-line block ×3, first 2 shown]
	v_mul_f32_e32 v12, 0x3f5ff5aa, v6
	v_mov_b32_e32 v23, v13
	v_add_f32_e32 v3, v3, v15
	v_fma_f32 v12, v8, s2, -v12
	v_fmac_f32_e32 v23, 0x3eae86e6, v8
	v_mul_f32_e32 v8, 0x3f5ff5aa, v14
	v_fma_f32 v17, v16, s14, -v17
	v_fma_f32 v16, v16, s3, -v5
	v_fmac_f32_e32 v5, 0x3d64c772, v21
	v_mov_b32_e32 v21, v9
	v_mul_f32_e32 v22, 0x3f4a47b2, v24
	v_add_f32_e32 v2, v2, v11
	v_fma_f32 v24, v4, s2, -v8
	v_fmac_f32_e32 v21, 0x3eae86e6, v4
	v_mov_b32_e32 v4, v3
	s_mov_b32 s2, 0x3f5ff5aa
	v_fmac_f32_e32 v4, 0xbf955555, v15
	v_mov_b32_e32 v8, v2
	v_fma_f32 v13, v6, s2, -v13
	v_fmac_f32_e32 v8, 0xbf955555, v11
	v_add_f32_e32 v16, v16, v4
	v_add_f32_e32 v11, v17, v4
	v_fmac_f32_e32 v12, 0x3ee1c552, v7
	v_fmac_f32_e32 v13, 0x3ee1c552, v7
	v_fmac_f32_e32 v23, 0x3ee1c552, v7
	v_fma_f32 v14, v14, s2, -v9
	v_add_f32_e32 v7, v12, v16
	v_sub_f32_e32 v9, v11, v13
	v_add_f32_e32 v11, v13, v11
	v_sub_f32_e32 v13, v16, v12
	v_lshrrev_b32_e32 v16, 3, v20
	v_add_f32_e32 v15, v5, v4
	v_mov_b32_e32 v4, v22
	v_mul_f32_e32 v17, 0x3d64c772, v25
	v_mul_u32_u24_e32 v16, 56, v16
	v_fmac_f32_e32 v4, 0x3d64c772, v25
	v_fmac_f32_e32 v21, 0x3ee1c552, v10
	;; [unrolled: 1-line block ×4, first 2 shown]
	v_fma_f32 v10, v26, s14, -v17
	v_or_b32_e32 v16, v16, v29
	v_add_f32_e32 v25, v4, v8
	v_fma_f32 v6, v26, s3, -v22
	v_add_f32_e32 v10, v10, v8
	v_mul_u32_u24_e32 v16, 0x48, v16
	v_add_f32_e32 v5, v23, v15
	v_add_f32_e32 v22, v6, v8
	;; [unrolled: 1-line block ×3, first 2 shown]
	v_sub_f32_e32 v10, v10, v14
	v_sub_f32_e32 v15, v15, v23
	v_add_f32_e32 v14, v21, v25
	v_add3_u32 v16, 0, v16, v18
	v_sub_f32_e32 v6, v22, v24
	v_add_f32_e32 v12, v24, v22
	ds_write2_b64 v16, v[2:3], v[14:15] offset1:72
	ds_write2_b64 v16, v[12:13], v[10:11] offset0:144 offset1:216
	v_add_u32_e32 v2, 0x800, v16
	v_sub_f32_e32 v4, v25, v21
	ds_write2_b64 v2, v[8:9], v[6:7] offset0:32 offset1:104
	ds_write_b64 v16, v[4:5] offset:3456
.LBB0_22:
	s_or_b64 exec, exec, s[4:5]
	s_or_b64 s[0:1], vcc, s[0:1]
	s_waitcnt lgkmcnt(0)
	s_barrier
	s_and_saveexec_b64 s[2:3], s[0:1]
	s_cbranch_execz .LBB0_24
; %bb.23:
	v_mul_lo_u16_e32 v2, 37, v20
	v_lshrrev_b16_e32 v2, 11, v2
	v_mul_lo_u16_e32 v2, 56, v2
	v_sub_u16_e32 v2, v20, v2
	v_and_b32_e32 v22, 0xff, v2
	v_add_u32_e32 v8, 0xa8, v22
	v_mul_u32_u24_e32 v2, 3, v22
	v_mul_lo_u32 v8, v1, v8
	v_lshlrev_b32_e32 v6, 3, v2
	global_load_dwordx4 v[2:5], v6, s[18:19] offset:384
	v_mov_b32_e32 v23, 3
	global_load_dwordx2 v[6:7], v6, s[18:19] offset:400
	v_lshlrev_b32_sdwa v12, v23, v8 dst_sel:DWORD dst_unused:UNUSED_PAD src0_sel:DWORD src1_sel:BYTE_0
	v_lshlrev_b32_sdwa v13, v23, v8 dst_sel:DWORD dst_unused:UNUSED_PAD src0_sel:DWORD src1_sel:BYTE_1
	global_load_dwordx2 v[8:9], v12, s[12:13]
	global_load_dwordx2 v[10:11], v13, s[12:13] offset:2048
	v_mul_u32_u24_e32 v12, 0x48, v20
	v_add3_u32 v18, 0, v12, v18
	ds_read_b64 v[12:13], v18 offset:12096
	ds_read_b64 v[14:15], v18 offset:8064
	;; [unrolled: 1-line block ×3, first 2 shown]
	ds_read_b64 v[20:21], v18
	v_add_u32_e32 v18, 0x70, v22
	v_mul_lo_u32 v18, v1, v18
	v_add_u32_e32 v24, 56, v22
	v_mul_lo_u32 v25, v1, v22
	v_mul_lo_u32 v1, v1, v24
	v_lshlrev_b32_sdwa v24, v23, v18 dst_sel:DWORD dst_unused:UNUSED_PAD src0_sel:DWORD src1_sel:BYTE_0
	v_lshlrev_b32_sdwa v18, v23, v18 dst_sel:DWORD dst_unused:UNUSED_PAD src0_sel:DWORD src1_sel:BYTE_1
	v_lshlrev_b32_sdwa v27, v23, v1 dst_sel:DWORD dst_unused:UNUSED_PAD src0_sel:DWORD src1_sel:BYTE_1
	s_waitcnt vmcnt(3) lgkmcnt(2)
	v_mul_f32_e32 v26, v5, v14
	v_mul_f32_e32 v5, v5, v15
	v_fmac_f32_e32 v26, v4, v15
	v_fma_f32 v14, v4, v14, -v5
	s_waitcnt lgkmcnt(1)
	v_mul_f32_e32 v4, v3, v17
	v_mul_f32_e32 v15, v3, v16
	v_fma_f32 v16, v2, v16, -v4
	v_fmac_f32_e32 v15, v2, v17
	v_lshlrev_b32_sdwa v17, v23, v1 dst_sel:DWORD dst_unused:UNUSED_PAD src0_sel:DWORD src1_sel:BYTE_0
	global_load_dwordx2 v[1:2], v24, s[12:13]
	global_load_dwordx2 v[3:4], v18, s[12:13] offset:2048
	s_waitcnt vmcnt(4)
	v_mul_f32_e32 v5, v7, v13
	v_mul_f32_e32 v18, v7, v12
	v_fma_f32 v24, v6, v12, -v5
	v_fmac_f32_e32 v18, v6, v13
	global_load_dwordx2 v[5:6], v17, s[12:13]
	global_load_dwordx2 v[12:13], v27, s[12:13] offset:2048
	v_lshlrev_b32_sdwa v17, v23, v25 dst_sel:DWORD dst_unused:UNUSED_PAD src0_sel:DWORD src1_sel:BYTE_0
	s_waitcnt vmcnt(4)
	v_mul_f32_e32 v7, v9, v11
	v_mul_f32_e32 v11, v8, v11
	v_lshlrev_b32_sdwa v23, v23, v25 dst_sel:DWORD dst_unused:UNUSED_PAD src0_sel:DWORD src1_sel:BYTE_1
	v_fma_f32 v25, v8, v10, -v7
	v_fmac_f32_e32 v11, v9, v10
	global_load_dwordx2 v[7:8], v17, s[12:13]
	global_load_dwordx2 v[9:10], v23, s[12:13] offset:2048
	s_waitcnt lgkmcnt(0)
	v_sub_f32_e32 v14, v20, v14
	v_sub_f32_e32 v18, v15, v18
	;; [unrolled: 1-line block ×5, first 2 shown]
	v_fma_f32 v15, v15, 2.0, -v18
	v_fma_f32 v18, v20, 2.0, -v14
	v_add_f32_e32 v24, v17, v23
	v_fma_f32 v21, v21, 2.0, -v17
	v_fma_f32 v16, v16, 2.0, -v23
	;; [unrolled: 1-line block ×3, first 2 shown]
	s_waitcnt vmcnt(4)
	v_mul_f32_e32 v20, v2, v4
	v_mul_f32_e32 v23, v1, v4
	v_fma_f32 v20, v1, v3, -v20
	v_fmac_f32_e32 v23, v2, v3
	v_sub_f32_e32 v3, v21, v15
	s_waitcnt vmcnt(2)
	v_mul_f32_e32 v1, v5, v13
	v_mul_f32_e32 v4, v6, v13
	v_sub_f32_e32 v13, v18, v16
	v_fma_f32 v15, v17, 2.0, -v24
	v_fmac_f32_e32 v1, v6, v12
	v_fma_f32 v5, v5, v12, -v4
	v_mul_f32_e32 v4, v13, v23
	s_waitcnt vmcnt(0)
	v_mul_f32_e32 v2, v8, v10
	v_mul_f32_e32 v16, v7, v10
	v_fma_f32 v7, v7, v9, -v2
	v_fmac_f32_e32 v16, v8, v9
	v_mul_f32_e32 v9, v3, v23
	v_mul_f32_e32 v6, v14, v1
	;; [unrolled: 1-line block ×3, first 2 shown]
	v_fma_f32 v17, v21, 2.0, -v3
	v_fmac_f32_e32 v4, v3, v20
	v_fma_f32 v3, v13, v20, -v9
	v_fmac_f32_e32 v6, v15, v5
	v_fma_f32 v5, v14, v5, -v10
	v_mad_u64_u32 v[9:10], s[0:1], s10, v19, 0
	s_movk_i32 s0, 0x209
	v_mul_u32_u24_sdwa v0, v0, s0 dst_sel:DWORD dst_unused:UNUSED_PAD src0_sel:WORD_0 src1_sel:DWORD
	v_lshrrev_b32_e32 v0, 18, v0
	v_mul_lo_u16_e32 v0, 0xe0, v0
	v_add_u32_e32 v20, v22, v0
	v_mul_f32_e32 v2, v26, v11
	v_mul_f32_e32 v8, v24, v11
	v_mad_u64_u32 v[11:12], s[0:1], s8, v20, 0
	v_fma_f32 v1, v26, v25, -v8
	v_mov_b32_e32 v0, v10
	v_fma_f32 v18, v18, 2.0, -v13
	v_mad_u64_u32 v[13:14], s[0:1], s11, v19, v[0:1]
	v_mov_b32_e32 v0, v12
	v_mad_u64_u32 v[14:15], s[0:1], s9, v20, v[0:1]
	s_lshl_b64 s[0:1], s[6:7], 3
	s_add_u32 s2, s16, s0
	v_mul_f32_e32 v8, v18, v16
	v_mul_f32_e32 v0, v17, v16
	s_addc_u32 s0, s17, s1
	v_add_u32_e32 v15, 56, v20
	v_fmac_f32_e32 v8, v17, v7
	v_fma_f32 v7, v18, v7, -v0
	v_mov_b32_e32 v10, v13
	v_mov_b32_e32 v12, v14
	;; [unrolled: 1-line block ×3, first 2 shown]
	v_mad_u64_u32 v[13:14], s[0:1], s8, v15, 0
	v_lshlrev_b64 v[9:10], 3, v[9:10]
	v_fmac_f32_e32 v2, v24, v25
	v_add_co_u32_e32 v16, vcc, s2, v9
	v_addc_co_u32_e32 v17, vcc, v0, v10, vcc
	v_mov_b32_e32 v0, v14
	v_lshlrev_b64 v[9:10], 3, v[11:12]
	v_mad_u64_u32 v[11:12], s[0:1], s9, v15, v[0:1]
	v_add_co_u32_e32 v9, vcc, v16, v9
	v_addc_co_u32_e32 v10, vcc, v17, v10, vcc
	v_mov_b32_e32 v14, v11
	v_add_u32_e32 v11, 0x70, v20
	global_store_dwordx2 v[9:10], v[7:8], off
	v_mad_u64_u32 v[9:10], s[0:1], s8, v11, 0
	v_lshlrev_b64 v[7:8], 3, v[13:14]
	v_add_u32_e32 v13, 0xa8, v20
	v_mov_b32_e32 v0, v10
	v_mad_u64_u32 v[10:11], s[0:1], s9, v11, v[0:1]
	v_mad_u64_u32 v[11:12], s[0:1], s8, v13, 0
	v_add_co_u32_e32 v7, vcc, v16, v7
	v_addc_co_u32_e32 v8, vcc, v17, v8, vcc
	v_mov_b32_e32 v0, v12
	global_store_dwordx2 v[7:8], v[5:6], off
	v_mad_u64_u32 v[7:8], s[0:1], s9, v13, v[0:1]
	v_lshlrev_b64 v[5:6], 3, v[9:10]
	v_add_co_u32_e32 v5, vcc, v16, v5
	v_addc_co_u32_e32 v6, vcc, v17, v6, vcc
	v_mov_b32_e32 v12, v7
	global_store_dwordx2 v[5:6], v[3:4], off
	v_lshlrev_b64 v[3:4], 3, v[11:12]
	v_add_co_u32_e32 v3, vcc, v16, v3
	v_addc_co_u32_e32 v4, vcc, v17, v4, vcc
	global_store_dwordx2 v[3:4], v[1:2], off
.LBB0_24:
	s_endpgm
	.section	.rodata,"a",@progbits
	.p2align	6, 0x0
	.amdhsa_kernel fft_rtc_fwd_len224_factors_8_7_4_wgs_504_tpt_56_sp_ip_CI_sbcc_twdbase8_2step_dirReg
		.amdhsa_group_segment_fixed_size 0
		.amdhsa_private_segment_fixed_size 0
		.amdhsa_kernarg_size 96
		.amdhsa_user_sgpr_count 6
		.amdhsa_user_sgpr_private_segment_buffer 1
		.amdhsa_user_sgpr_dispatch_ptr 0
		.amdhsa_user_sgpr_queue_ptr 0
		.amdhsa_user_sgpr_kernarg_segment_ptr 1
		.amdhsa_user_sgpr_dispatch_id 0
		.amdhsa_user_sgpr_flat_scratch_init 0
		.amdhsa_user_sgpr_private_segment_size 0
		.amdhsa_uses_dynamic_stack 0
		.amdhsa_system_sgpr_private_segment_wavefront_offset 0
		.amdhsa_system_sgpr_workgroup_id_x 1
		.amdhsa_system_sgpr_workgroup_id_y 0
		.amdhsa_system_sgpr_workgroup_id_z 0
		.amdhsa_system_sgpr_workgroup_info 0
		.amdhsa_system_vgpr_workitem_id 0
		.amdhsa_next_free_vgpr 37
		.amdhsa_next_free_sgpr 45
		.amdhsa_reserve_vcc 1
		.amdhsa_reserve_flat_scratch 0
		.amdhsa_float_round_mode_32 0
		.amdhsa_float_round_mode_16_64 0
		.amdhsa_float_denorm_mode_32 3
		.amdhsa_float_denorm_mode_16_64 3
		.amdhsa_dx10_clamp 1
		.amdhsa_ieee_mode 1
		.amdhsa_fp16_overflow 0
		.amdhsa_exception_fp_ieee_invalid_op 0
		.amdhsa_exception_fp_denorm_src 0
		.amdhsa_exception_fp_ieee_div_zero 0
		.amdhsa_exception_fp_ieee_overflow 0
		.amdhsa_exception_fp_ieee_underflow 0
		.amdhsa_exception_fp_ieee_inexact 0
		.amdhsa_exception_int_div_zero 0
	.end_amdhsa_kernel
	.text
.Lfunc_end0:
	.size	fft_rtc_fwd_len224_factors_8_7_4_wgs_504_tpt_56_sp_ip_CI_sbcc_twdbase8_2step_dirReg, .Lfunc_end0-fft_rtc_fwd_len224_factors_8_7_4_wgs_504_tpt_56_sp_ip_CI_sbcc_twdbase8_2step_dirReg
                                        ; -- End function
	.section	.AMDGPU.csdata,"",@progbits
; Kernel info:
; codeLenInByte = 4940
; NumSgprs: 49
; NumVgprs: 37
; ScratchSize: 0
; MemoryBound: 0
; FloatMode: 240
; IeeeMode: 1
; LDSByteSize: 0 bytes/workgroup (compile time only)
; SGPRBlocks: 6
; VGPRBlocks: 9
; NumSGPRsForWavesPerEU: 49
; NumVGPRsForWavesPerEU: 37
; Occupancy: 6
; WaveLimiterHint : 1
; COMPUTE_PGM_RSRC2:SCRATCH_EN: 0
; COMPUTE_PGM_RSRC2:USER_SGPR: 6
; COMPUTE_PGM_RSRC2:TRAP_HANDLER: 0
; COMPUTE_PGM_RSRC2:TGID_X_EN: 1
; COMPUTE_PGM_RSRC2:TGID_Y_EN: 0
; COMPUTE_PGM_RSRC2:TGID_Z_EN: 0
; COMPUTE_PGM_RSRC2:TIDIG_COMP_CNT: 0
	.type	__hip_cuid_10f91442ab4c73ba,@object ; @__hip_cuid_10f91442ab4c73ba
	.section	.bss,"aw",@nobits
	.globl	__hip_cuid_10f91442ab4c73ba
__hip_cuid_10f91442ab4c73ba:
	.byte	0                               ; 0x0
	.size	__hip_cuid_10f91442ab4c73ba, 1

	.ident	"AMD clang version 19.0.0git (https://github.com/RadeonOpenCompute/llvm-project roc-6.4.0 25133 c7fe45cf4b819c5991fe208aaa96edf142730f1d)"
	.section	".note.GNU-stack","",@progbits
	.addrsig
	.addrsig_sym __hip_cuid_10f91442ab4c73ba
	.amdgpu_metadata
---
amdhsa.kernels:
  - .args:
      - .actual_access:  read_only
        .address_space:  global
        .offset:         0
        .size:           8
        .value_kind:     global_buffer
      - .address_space:  global
        .offset:         8
        .size:           8
        .value_kind:     global_buffer
      - .offset:         16
        .size:           8
        .value_kind:     by_value
      - .actual_access:  read_only
        .address_space:  global
        .offset:         24
        .size:           8
        .value_kind:     global_buffer
      - .actual_access:  read_only
        .address_space:  global
        .offset:         32
        .size:           8
        .value_kind:     global_buffer
      - .offset:         40
        .size:           8
        .value_kind:     by_value
      - .actual_access:  read_only
        .address_space:  global
        .offset:         48
        .size:           8
        .value_kind:     global_buffer
      - .actual_access:  read_only
        .address_space:  global
        .offset:         56
        .size:           8
        .value_kind:     global_buffer
      - .offset:         64
        .size:           4
        .value_kind:     by_value
      - .actual_access:  read_only
        .address_space:  global
        .offset:         72
        .size:           8
        .value_kind:     global_buffer
      - .actual_access:  read_only
        .address_space:  global
        .offset:         80
        .size:           8
        .value_kind:     global_buffer
      - .address_space:  global
        .offset:         88
        .size:           8
        .value_kind:     global_buffer
    .group_segment_fixed_size: 0
    .kernarg_segment_align: 8
    .kernarg_segment_size: 96
    .language:       OpenCL C
    .language_version:
      - 2
      - 0
    .max_flat_workgroup_size: 504
    .name:           fft_rtc_fwd_len224_factors_8_7_4_wgs_504_tpt_56_sp_ip_CI_sbcc_twdbase8_2step_dirReg
    .private_segment_fixed_size: 0
    .sgpr_count:     49
    .sgpr_spill_count: 0
    .symbol:         fft_rtc_fwd_len224_factors_8_7_4_wgs_504_tpt_56_sp_ip_CI_sbcc_twdbase8_2step_dirReg.kd
    .uniform_work_group_size: 1
    .uses_dynamic_stack: false
    .vgpr_count:     37
    .vgpr_spill_count: 0
    .wavefront_size: 64
amdhsa.target:   amdgcn-amd-amdhsa--gfx906
amdhsa.version:
  - 1
  - 2
...

	.end_amdgpu_metadata
